;; amdgpu-corpus repo=ROCm/rocm-examples kind=compiled arch=gfx906 opt=O3
	.amdgcn_target "amdgcn-amd-amdhsa--gfx906"
	.amdhsa_code_object_version 6
	.section	.text._Z28matrix_multiplication_kernelILj16EEvPKfS1_Pfj,"axG",@progbits,_Z28matrix_multiplication_kernelILj16EEvPKfS1_Pfj,comdat
	.protected	_Z28matrix_multiplication_kernelILj16EEvPKfS1_Pfj ; -- Begin function _Z28matrix_multiplication_kernelILj16EEvPKfS1_Pfj
	.globl	_Z28matrix_multiplication_kernelILj16EEvPKfS1_Pfj
	.p2align	8
	.type	_Z28matrix_multiplication_kernelILj16EEvPKfS1_Pfj,@function
_Z28matrix_multiplication_kernelILj16EEvPKfS1_Pfj: ; @_Z28matrix_multiplication_kernelILj16EEvPKfS1_Pfj
; %bb.0:
	s_load_dword s10, s[4:5], 0x2c
	s_load_dword s11, s[4:5], 0x20
	;; [unrolled: 1-line block ×3, first 2 shown]
	s_load_dwordx4 s[0:3], s[4:5], 0x0
	s_load_dwordx2 s[8:9], s[4:5], 0x10
	s_waitcnt lgkmcnt(0)
	s_and_b32 s4, s10, 0xffff
	s_mul_i32 s4, s11, s4
	s_cmp_gt_u32 s12, 15
	v_lshl_add_u32 v6, s7, 4, v1
	s_cbranch_scc0 .LBB0_4
; %bb.1:
	v_mul_lo_u32 v3, s4, v1
	v_lshl_add_u32 v7, s7, 4, v1
	s_lshr_b32 s10, s12, 4
	v_mad_u64_u32 v[4:5], s[12:13], s12, v7, v[0:1]
	v_lshlrev_b32_e32 v2, 2, v0
	v_lshlrev_b32_e32 v8, 6, v1
	v_add_u32_e32 v10, 0x400, v2
	s_lshl_b32 s5, s6, 4
	v_mov_b32_e32 v5, 0
	v_add_u32_e32 v9, v8, v2
	v_add_u32_e32 v11, v10, v8
	v_add3_u32 v2, v0, v3, s5
	s_lshl_b32 s11, s4, 4
	v_mov_b32_e32 v12, s1
	v_mov_b32_e32 v13, s3
	v_mov_b32_e32 v1, v5
.LBB0_2:                                ; =>This Inner Loop Header: Depth=1
	v_lshlrev_b64 v[14:15], 2, v[4:5]
	v_mov_b32_e32 v3, v5
	v_lshlrev_b64 v[16:17], 2, v[2:3]
	v_add_co_u32_e32 v14, vcc, s0, v14
	v_addc_co_u32_e32 v15, vcc, v12, v15, vcc
	global_load_dword v3, v[14:15], off
	v_add_co_u32_e32 v14, vcc, s2, v16
	v_addc_co_u32_e32 v15, vcc, v13, v17, vcc
	global_load_dword v14, v[14:15], off
	s_add_i32 s10, s10, -1
	v_add_u32_e32 v4, 16, v4
	v_add_u32_e32 v2, s11, v2
	s_cmp_eq_u32 s10, 0
	s_waitcnt vmcnt(1)
	ds_write_b32 v9, v3
	s_waitcnt vmcnt(0)
	ds_write_b32 v11, v14
	s_waitcnt lgkmcnt(0)
	s_barrier
	ds_read2_b32 v[22:23], v10 offset1:16
	ds_read_b128 v[14:17], v8
	ds_read_b128 v[18:21], v8 offset:16
	ds_read2_b32 v[24:25], v10 offset0:32 offset1:48
	ds_read2_b32 v[26:27], v10 offset0:64 offset1:80
	;; [unrolled: 1-line block ×3, first 2 shown]
	s_waitcnt lgkmcnt(4)
	v_fmac_f32_e32 v1, v14, v22
	v_fmac_f32_e32 v1, v15, v23
	s_waitcnt lgkmcnt(2)
	v_fmac_f32_e32 v1, v16, v24
	v_fmac_f32_e32 v1, v17, v25
	s_waitcnt lgkmcnt(1)
	v_fmac_f32_e32 v1, v18, v26
	ds_read_b128 v[14:17], v8 offset:32
	ds_read_b128 v[22:25], v8 offset:48
	v_fmac_f32_e32 v1, v19, v27
	ds_read2_b32 v[18:19], v10 offset0:128 offset1:144
	s_waitcnt lgkmcnt(3)
	v_fmac_f32_e32 v1, v20, v28
	v_fmac_f32_e32 v1, v21, v29
	ds_read2_b32 v[20:21], v10 offset0:160 offset1:176
	ds_read2_b32 v[26:27], v10 offset0:192 offset1:208
	ds_read2_b32 v[28:29], v10 offset0:224 offset1:240
	s_waitcnt lgkmcnt(0)
	v_fmac_f32_e32 v1, v14, v18
	v_fmac_f32_e32 v1, v15, v19
	;; [unrolled: 1-line block ×8, first 2 shown]
	s_barrier
	s_cbranch_scc0 .LBB0_2
; %bb.3:
	s_branch .LBB0_6
.LBB0_4:
                                        ; implicit-def: $vgpr1
                                        ; implicit-def: $sgpr5
                                        ; implicit-def: $vgpr7
	s_cbranch_execz .LBB0_6
; %bb.5:
	s_lshl_b32 s5, s6, 4
	v_mov_b32_e32 v1, 0
	v_mov_b32_e32 v7, v6
.LBB0_6:
	v_mul_lo_u32 v2, v7, s4
	v_mov_b32_e32 v3, 0
	v_mov_b32_e32 v4, s9
	v_add3_u32 v2, s5, v0, v2
	v_lshlrev_b64 v[2:3], 2, v[2:3]
	v_add_co_u32_e32 v2, vcc, s8, v2
	v_addc_co_u32_e32 v3, vcc, v4, v3, vcc
	global_store_dword v[2:3], v1, off
	s_endpgm
	.section	.rodata,"a",@progbits
	.p2align	6, 0x0
	.amdhsa_kernel _Z28matrix_multiplication_kernelILj16EEvPKfS1_Pfj
		.amdhsa_group_segment_fixed_size 2048
		.amdhsa_private_segment_fixed_size 0
		.amdhsa_kernarg_size 288
		.amdhsa_user_sgpr_count 6
		.amdhsa_user_sgpr_private_segment_buffer 1
		.amdhsa_user_sgpr_dispatch_ptr 0
		.amdhsa_user_sgpr_queue_ptr 0
		.amdhsa_user_sgpr_kernarg_segment_ptr 1
		.amdhsa_user_sgpr_dispatch_id 0
		.amdhsa_user_sgpr_flat_scratch_init 0
		.amdhsa_user_sgpr_private_segment_size 0
		.amdhsa_uses_dynamic_stack 0
		.amdhsa_system_sgpr_private_segment_wavefront_offset 0
		.amdhsa_system_sgpr_workgroup_id_x 1
		.amdhsa_system_sgpr_workgroup_id_y 1
		.amdhsa_system_sgpr_workgroup_id_z 0
		.amdhsa_system_sgpr_workgroup_info 0
		.amdhsa_system_vgpr_workitem_id 1
		.amdhsa_next_free_vgpr 30
		.amdhsa_next_free_sgpr 61
		.amdhsa_reserve_vcc 1
		.amdhsa_reserve_flat_scratch 0
		.amdhsa_float_round_mode_32 0
		.amdhsa_float_round_mode_16_64 0
		.amdhsa_float_denorm_mode_32 3
		.amdhsa_float_denorm_mode_16_64 3
		.amdhsa_dx10_clamp 1
		.amdhsa_ieee_mode 1
		.amdhsa_fp16_overflow 0
		.amdhsa_exception_fp_ieee_invalid_op 0
		.amdhsa_exception_fp_denorm_src 0
		.amdhsa_exception_fp_ieee_div_zero 0
		.amdhsa_exception_fp_ieee_overflow 0
		.amdhsa_exception_fp_ieee_underflow 0
		.amdhsa_exception_fp_ieee_inexact 0
		.amdhsa_exception_int_div_zero 0
	.end_amdhsa_kernel
	.section	.text._Z28matrix_multiplication_kernelILj16EEvPKfS1_Pfj,"axG",@progbits,_Z28matrix_multiplication_kernelILj16EEvPKfS1_Pfj,comdat
.Lfunc_end0:
	.size	_Z28matrix_multiplication_kernelILj16EEvPKfS1_Pfj, .Lfunc_end0-_Z28matrix_multiplication_kernelILj16EEvPKfS1_Pfj
                                        ; -- End function
	.set _Z28matrix_multiplication_kernelILj16EEvPKfS1_Pfj.num_vgpr, 30
	.set _Z28matrix_multiplication_kernelILj16EEvPKfS1_Pfj.num_agpr, 0
	.set _Z28matrix_multiplication_kernelILj16EEvPKfS1_Pfj.numbered_sgpr, 14
	.set _Z28matrix_multiplication_kernelILj16EEvPKfS1_Pfj.num_named_barrier, 0
	.set _Z28matrix_multiplication_kernelILj16EEvPKfS1_Pfj.private_seg_size, 0
	.set _Z28matrix_multiplication_kernelILj16EEvPKfS1_Pfj.uses_vcc, 1
	.set _Z28matrix_multiplication_kernelILj16EEvPKfS1_Pfj.uses_flat_scratch, 0
	.set _Z28matrix_multiplication_kernelILj16EEvPKfS1_Pfj.has_dyn_sized_stack, 0
	.set _Z28matrix_multiplication_kernelILj16EEvPKfS1_Pfj.has_recursion, 0
	.set _Z28matrix_multiplication_kernelILj16EEvPKfS1_Pfj.has_indirect_call, 0
	.section	.AMDGPU.csdata,"",@progbits
; Kernel info:
; codeLenInByte = 516
; TotalNumSgprs: 18
; NumVgprs: 30
; ScratchSize: 0
; MemoryBound: 0
; FloatMode: 240
; IeeeMode: 1
; LDSByteSize: 2048 bytes/workgroup (compile time only)
; SGPRBlocks: 8
; VGPRBlocks: 7
; NumSGPRsForWavesPerEU: 65
; NumVGPRsForWavesPerEU: 30
; Occupancy: 8
; WaveLimiterHint : 0
; COMPUTE_PGM_RSRC2:SCRATCH_EN: 0
; COMPUTE_PGM_RSRC2:USER_SGPR: 6
; COMPUTE_PGM_RSRC2:TRAP_HANDLER: 0
; COMPUTE_PGM_RSRC2:TGID_X_EN: 1
; COMPUTE_PGM_RSRC2:TGID_Y_EN: 1
; COMPUTE_PGM_RSRC2:TGID_Z_EN: 0
; COMPUTE_PGM_RSRC2:TIDIG_COMP_CNT: 1
	.section	.AMDGPU.gpr_maximums,"",@progbits
	.set amdgpu.max_num_vgpr, 0
	.set amdgpu.max_num_agpr, 0
	.set amdgpu.max_num_sgpr, 0
	.section	.AMDGPU.csdata,"",@progbits
	.type	__hip_cuid_efaf468897d96732,@object ; @__hip_cuid_efaf468897d96732
	.section	.bss,"aw",@nobits
	.globl	__hip_cuid_efaf468897d96732
__hip_cuid_efaf468897d96732:
	.byte	0                               ; 0x0
	.size	__hip_cuid_efaf468897d96732, 1

	.ident	"AMD clang version 22.0.0git (https://github.com/RadeonOpenCompute/llvm-project roc-7.2.4 26084 f58b06dce1f9c15707c5f808fd002e18c2accf7e)"
	.section	".note.GNU-stack","",@progbits
	.addrsig
	.addrsig_sym __hip_cuid_efaf468897d96732
	.amdgpu_metadata
---
amdhsa.kernels:
  - .args:
      - .address_space:  global
        .offset:         0
        .size:           8
        .value_kind:     global_buffer
      - .address_space:  global
        .offset:         8
        .size:           8
        .value_kind:     global_buffer
      - .address_space:  global
        .offset:         16
        .size:           8
        .value_kind:     global_buffer
      - .offset:         24
        .size:           4
        .value_kind:     by_value
      - .offset:         32
        .size:           4
        .value_kind:     hidden_block_count_x
      - .offset:         36
        .size:           4
        .value_kind:     hidden_block_count_y
      - .offset:         40
        .size:           4
        .value_kind:     hidden_block_count_z
      - .offset:         44
        .size:           2
        .value_kind:     hidden_group_size_x
      - .offset:         46
        .size:           2
        .value_kind:     hidden_group_size_y
      - .offset:         48
        .size:           2
        .value_kind:     hidden_group_size_z
      - .offset:         50
        .size:           2
        .value_kind:     hidden_remainder_x
      - .offset:         52
        .size:           2
        .value_kind:     hidden_remainder_y
      - .offset:         54
        .size:           2
        .value_kind:     hidden_remainder_z
      - .offset:         72
        .size:           8
        .value_kind:     hidden_global_offset_x
      - .offset:         80
        .size:           8
        .value_kind:     hidden_global_offset_y
      - .offset:         88
        .size:           8
        .value_kind:     hidden_global_offset_z
      - .offset:         96
        .size:           2
        .value_kind:     hidden_grid_dims
    .group_segment_fixed_size: 2048
    .kernarg_segment_align: 8
    .kernarg_segment_size: 288
    .language:       OpenCL C
    .language_version:
      - 2
      - 0
    .max_flat_workgroup_size: 1024
    .name:           _Z28matrix_multiplication_kernelILj16EEvPKfS1_Pfj
    .private_segment_fixed_size: 0
    .sgpr_count:     18
    .sgpr_spill_count: 0
    .symbol:         _Z28matrix_multiplication_kernelILj16EEvPKfS1_Pfj.kd
    .uniform_work_group_size: 1
    .uses_dynamic_stack: false
    .vgpr_count:     30
    .vgpr_spill_count: 0
    .wavefront_size: 64
amdhsa.target:   amdgcn-amd-amdhsa--gfx906
amdhsa.version:
  - 1
  - 2
...

	.end_amdgpu_metadata
